;; amdgpu-corpus repo=ROCm/rocFFT kind=compiled arch=gfx906 opt=O3
	.text
	.amdgcn_target "amdgcn-amd-amdhsa--gfx906"
	.amdhsa_code_object_version 6
	.protected	fft_rtc_back_len238_factors_17_7_2_wgs_51_tpt_17_halfLds_sp_ip_CI_unitstride_sbrr_dirReg ; -- Begin function fft_rtc_back_len238_factors_17_7_2_wgs_51_tpt_17_halfLds_sp_ip_CI_unitstride_sbrr_dirReg
	.globl	fft_rtc_back_len238_factors_17_7_2_wgs_51_tpt_17_halfLds_sp_ip_CI_unitstride_sbrr_dirReg
	.p2align	8
	.type	fft_rtc_back_len238_factors_17_7_2_wgs_51_tpt_17_halfLds_sp_ip_CI_unitstride_sbrr_dirReg,@function
fft_rtc_back_len238_factors_17_7_2_wgs_51_tpt_17_halfLds_sp_ip_CI_unitstride_sbrr_dirReg: ; @fft_rtc_back_len238_factors_17_7_2_wgs_51_tpt_17_halfLds_sp_ip_CI_unitstride_sbrr_dirReg
; %bb.0:
	v_mul_u32_u24_e32 v1, 0xf10, v0
	s_load_dwordx2 s[12:13], s[4:5], 0x50
	s_load_dwordx4 s[8:11], s[4:5], 0x0
	s_load_dwordx2 s[2:3], s[4:5], 0x18
	v_lshrrev_b32_e32 v1, 16, v1
	v_mad_u64_u32 v[38:39], s[0:1], s6, 3, v[1:2]
	v_mov_b32_e32 v3, 0
	s_waitcnt lgkmcnt(0)
	v_cmp_lt_u64_e64 s[0:1], s[10:11], 2
	v_mov_b32_e32 v39, v3
	v_mov_b32_e32 v1, 0
	;; [unrolled: 1-line block ×3, first 2 shown]
	s_and_b64 vcc, exec, s[0:1]
	v_mov_b32_e32 v2, 0
	v_mov_b32_e32 v8, v39
	s_cbranch_vccnz .LBB0_8
; %bb.1:
	s_load_dwordx2 s[0:1], s[4:5], 0x10
	s_add_u32 s6, s2, 8
	s_addc_u32 s7, s3, 0
	v_mov_b32_e32 v1, 0
	v_mov_b32_e32 v5, v38
	s_waitcnt lgkmcnt(0)
	s_add_u32 s16, s0, 8
	s_mov_b64 s[14:15], 1
	v_mov_b32_e32 v2, 0
	s_addc_u32 s17, s1, 0
	v_mov_b32_e32 v6, v39
.LBB0_2:                                ; =>This Inner Loop Header: Depth=1
	s_load_dwordx2 s[18:19], s[16:17], 0x0
                                        ; implicit-def: $vgpr7_vgpr8
	s_waitcnt lgkmcnt(0)
	v_or_b32_e32 v4, s19, v6
	v_cmp_ne_u64_e32 vcc, 0, v[3:4]
	s_and_saveexec_b64 s[0:1], vcc
	s_xor_b64 s[20:21], exec, s[0:1]
	s_cbranch_execz .LBB0_4
; %bb.3:                                ;   in Loop: Header=BB0_2 Depth=1
	v_cvt_f32_u32_e32 v4, s18
	v_cvt_f32_u32_e32 v7, s19
	s_sub_u32 s0, 0, s18
	s_subb_u32 s1, 0, s19
	v_mac_f32_e32 v4, 0x4f800000, v7
	v_rcp_f32_e32 v4, v4
	v_mul_f32_e32 v4, 0x5f7ffffc, v4
	v_mul_f32_e32 v7, 0x2f800000, v4
	v_trunc_f32_e32 v7, v7
	v_mac_f32_e32 v4, 0xcf800000, v7
	v_cvt_u32_f32_e32 v7, v7
	v_cvt_u32_f32_e32 v4, v4
	v_mul_lo_u32 v8, s0, v7
	v_mul_hi_u32 v9, s0, v4
	v_mul_lo_u32 v11, s1, v4
	v_mul_lo_u32 v10, s0, v4
	v_add_u32_e32 v8, v9, v8
	v_add_u32_e32 v8, v8, v11
	v_mul_hi_u32 v9, v4, v10
	v_mul_lo_u32 v11, v4, v8
	v_mul_hi_u32 v13, v4, v8
	v_mul_hi_u32 v12, v7, v10
	v_mul_lo_u32 v10, v7, v10
	v_mul_hi_u32 v14, v7, v8
	v_add_co_u32_e32 v9, vcc, v9, v11
	v_addc_co_u32_e32 v11, vcc, 0, v13, vcc
	v_mul_lo_u32 v8, v7, v8
	v_add_co_u32_e32 v9, vcc, v9, v10
	v_addc_co_u32_e32 v9, vcc, v11, v12, vcc
	v_addc_co_u32_e32 v10, vcc, 0, v14, vcc
	v_add_co_u32_e32 v8, vcc, v9, v8
	v_addc_co_u32_e32 v9, vcc, 0, v10, vcc
	v_add_co_u32_e32 v4, vcc, v4, v8
	v_addc_co_u32_e32 v7, vcc, v7, v9, vcc
	v_mul_lo_u32 v8, s0, v7
	v_mul_hi_u32 v9, s0, v4
	v_mul_lo_u32 v10, s1, v4
	v_mul_lo_u32 v11, s0, v4
	v_add_u32_e32 v8, v9, v8
	v_add_u32_e32 v8, v8, v10
	v_mul_lo_u32 v12, v4, v8
	v_mul_hi_u32 v13, v4, v11
	v_mul_hi_u32 v14, v4, v8
	;; [unrolled: 1-line block ×3, first 2 shown]
	v_mul_lo_u32 v11, v7, v11
	v_mul_hi_u32 v9, v7, v8
	v_add_co_u32_e32 v12, vcc, v13, v12
	v_addc_co_u32_e32 v13, vcc, 0, v14, vcc
	v_mul_lo_u32 v8, v7, v8
	v_add_co_u32_e32 v11, vcc, v12, v11
	v_addc_co_u32_e32 v10, vcc, v13, v10, vcc
	v_addc_co_u32_e32 v9, vcc, 0, v9, vcc
	v_add_co_u32_e32 v8, vcc, v10, v8
	v_addc_co_u32_e32 v9, vcc, 0, v9, vcc
	v_add_co_u32_e32 v4, vcc, v4, v8
	v_addc_co_u32_e32 v9, vcc, v7, v9, vcc
	v_mad_u64_u32 v[7:8], s[0:1], v5, v9, 0
	v_mul_hi_u32 v10, v5, v4
	v_add_co_u32_e32 v11, vcc, v10, v7
	v_addc_co_u32_e32 v12, vcc, 0, v8, vcc
	v_mad_u64_u32 v[7:8], s[0:1], v6, v4, 0
	v_mad_u64_u32 v[9:10], s[0:1], v6, v9, 0
	v_add_co_u32_e32 v4, vcc, v11, v7
	v_addc_co_u32_e32 v4, vcc, v12, v8, vcc
	v_addc_co_u32_e32 v7, vcc, 0, v10, vcc
	v_add_co_u32_e32 v4, vcc, v4, v9
	v_addc_co_u32_e32 v9, vcc, 0, v7, vcc
	v_mul_lo_u32 v10, s19, v4
	v_mul_lo_u32 v11, s18, v9
	v_mad_u64_u32 v[7:8], s[0:1], s18, v4, 0
	v_add3_u32 v8, v8, v11, v10
	v_sub_u32_e32 v10, v6, v8
	v_mov_b32_e32 v11, s19
	v_sub_co_u32_e32 v7, vcc, v5, v7
	v_subb_co_u32_e64 v10, s[0:1], v10, v11, vcc
	v_subrev_co_u32_e64 v11, s[0:1], s18, v7
	v_subbrev_co_u32_e64 v10, s[0:1], 0, v10, s[0:1]
	v_cmp_le_u32_e64 s[0:1], s19, v10
	v_cndmask_b32_e64 v12, 0, -1, s[0:1]
	v_cmp_le_u32_e64 s[0:1], s18, v11
	v_cndmask_b32_e64 v11, 0, -1, s[0:1]
	v_cmp_eq_u32_e64 s[0:1], s19, v10
	v_cndmask_b32_e64 v10, v12, v11, s[0:1]
	v_add_co_u32_e64 v11, s[0:1], 2, v4
	v_addc_co_u32_e64 v12, s[0:1], 0, v9, s[0:1]
	v_add_co_u32_e64 v13, s[0:1], 1, v4
	v_addc_co_u32_e64 v14, s[0:1], 0, v9, s[0:1]
	v_subb_co_u32_e32 v8, vcc, v6, v8, vcc
	v_cmp_ne_u32_e64 s[0:1], 0, v10
	v_cmp_le_u32_e32 vcc, s19, v8
	v_cndmask_b32_e64 v10, v14, v12, s[0:1]
	v_cndmask_b32_e64 v12, 0, -1, vcc
	v_cmp_le_u32_e32 vcc, s18, v7
	v_cndmask_b32_e64 v7, 0, -1, vcc
	v_cmp_eq_u32_e32 vcc, s19, v8
	v_cndmask_b32_e32 v7, v12, v7, vcc
	v_cmp_ne_u32_e32 vcc, 0, v7
	v_cndmask_b32_e64 v7, v13, v11, s[0:1]
	v_cndmask_b32_e32 v8, v9, v10, vcc
	v_cndmask_b32_e32 v7, v4, v7, vcc
.LBB0_4:                                ;   in Loop: Header=BB0_2 Depth=1
	s_andn2_saveexec_b64 s[0:1], s[20:21]
	s_cbranch_execz .LBB0_6
; %bb.5:                                ;   in Loop: Header=BB0_2 Depth=1
	v_cvt_f32_u32_e32 v4, s18
	s_sub_i32 s20, 0, s18
	v_rcp_iflag_f32_e32 v4, v4
	v_mul_f32_e32 v4, 0x4f7ffffe, v4
	v_cvt_u32_f32_e32 v4, v4
	v_mul_lo_u32 v7, s20, v4
	v_mul_hi_u32 v7, v4, v7
	v_add_u32_e32 v4, v4, v7
	v_mul_hi_u32 v4, v5, v4
	v_mul_lo_u32 v7, v4, s18
	v_add_u32_e32 v8, 1, v4
	v_sub_u32_e32 v7, v5, v7
	v_subrev_u32_e32 v9, s18, v7
	v_cmp_le_u32_e32 vcc, s18, v7
	v_cndmask_b32_e32 v7, v7, v9, vcc
	v_cndmask_b32_e32 v4, v4, v8, vcc
	v_add_u32_e32 v8, 1, v4
	v_cmp_le_u32_e32 vcc, s18, v7
	v_cndmask_b32_e32 v7, v4, v8, vcc
	v_mov_b32_e32 v8, v3
.LBB0_6:                                ;   in Loop: Header=BB0_2 Depth=1
	s_or_b64 exec, exec, s[0:1]
	v_mul_lo_u32 v4, v8, s18
	v_mul_lo_u32 v11, v7, s19
	v_mad_u64_u32 v[9:10], s[0:1], v7, s18, 0
	s_load_dwordx2 s[0:1], s[6:7], 0x0
	s_add_u32 s14, s14, 1
	v_add3_u32 v4, v10, v11, v4
	v_sub_co_u32_e32 v5, vcc, v5, v9
	v_subb_co_u32_e32 v4, vcc, v6, v4, vcc
	s_waitcnt lgkmcnt(0)
	v_mul_lo_u32 v4, s0, v4
	v_mul_lo_u32 v6, s1, v5
	v_mad_u64_u32 v[1:2], s[0:1], s0, v5, v[1:2]
	s_addc_u32 s15, s15, 0
	s_add_u32 s6, s6, 8
	v_add3_u32 v2, v6, v2, v4
	v_mov_b32_e32 v4, s10
	v_mov_b32_e32 v5, s11
	s_addc_u32 s7, s7, 0
	v_cmp_ge_u64_e32 vcc, s[14:15], v[4:5]
	s_add_u32 s16, s16, 8
	s_addc_u32 s17, s17, 0
	s_cbranch_vccnz .LBB0_8
; %bb.7:                                ;   in Loop: Header=BB0_2 Depth=1
	v_mov_b32_e32 v5, v7
	v_mov_b32_e32 v6, v8
	s_branch .LBB0_2
.LBB0_8:
	s_lshl_b64 s[0:1], s[10:11], 3
	s_add_u32 s0, s2, s0
	s_addc_u32 s1, s3, s1
	s_load_dwordx2 s[2:3], s[0:1], 0x0
	s_load_dwordx2 s[6:7], s[4:5], 0x20
	v_mov_b32_e32 v27, 0
	v_mov_b32_e32 v26, 0
                                        ; implicit-def: $vgpr33
                                        ; implicit-def: $vgpr29
                                        ; implicit-def: $vgpr23
                                        ; implicit-def: $vgpr21
                                        ; implicit-def: $vgpr17
                                        ; implicit-def: $vgpr13
                                        ; implicit-def: $vgpr9
                                        ; implicit-def: $vgpr11
                                        ; implicit-def: $vgpr15
                                        ; implicit-def: $vgpr19
                                        ; implicit-def: $vgpr37
                                        ; implicit-def: $vgpr35
                                        ; implicit-def: $vgpr31
                                        ; implicit-def: $vgpr25
	s_waitcnt lgkmcnt(0)
	v_mad_u64_u32 v[1:2], s[0:1], s2, v7, v[1:2]
	s_mov_b32 s0, 0xf0f0f10
	v_mul_lo_u32 v3, s2, v8
	v_mul_lo_u32 v4, s3, v7
	v_mul_hi_u32 v5, v0, s0
	v_cmp_gt_u64_e32 vcc, s[6:7], v[7:8]
                                        ; implicit-def: $vgpr7
	v_add3_u32 v2, v4, v2, v3
	v_mul_u32_u24_e32 v3, 17, v5
	v_sub_u32_e32 v0, v0, v3
	v_cmp_gt_u32_e64 s[0:1], 14, v0
	v_lshlrev_b64 v[2:3], 3, v[1:2]
	s_and_b64 s[2:3], vcc, s[0:1]
                                        ; implicit-def: $vgpr5
	s_and_saveexec_b64 s[4:5], s[2:3]
	s_cbranch_execz .LBB0_10
; %bb.9:
	v_mov_b32_e32 v1, 0
	v_mov_b32_e32 v4, s13
	v_add_co_u32_e64 v6, s[2:3], s12, v2
	v_addc_co_u32_e64 v7, s[2:3], v4, v3, s[2:3]
	v_lshlrev_b64 v[4:5], 3, v[0:1]
	v_add_co_u32_e64 v39, s[2:3], v6, v4
	v_addc_co_u32_e64 v40, s[2:3], v7, v5, s[2:3]
	global_load_dwordx2 v[26:27], v[39:40], off
	global_load_dwordx2 v[32:33], v[39:40], off offset:112
	global_load_dwordx2 v[28:29], v[39:40], off offset:224
	;; [unrolled: 1-line block ×16, first 2 shown]
.LBB0_10:
	s_or_b64 exec, exec, s[4:5]
	s_mov_b32 s2, 0xaaaaaaab
	v_mul_hi_u32 v1, v38, s2
	v_lshrrev_b32_e32 v1, 1, v1
	v_lshl_add_u32 v1, v1, 1, v1
	v_sub_u32_e32 v1, v38, v1
	v_mul_u32_u24_e32 v1, 0xee, v1
	v_lshlrev_b32_e32 v1, 2, v1
	s_and_saveexec_b64 s[2:3], s[0:1]
	s_cbranch_execz .LBB0_12
; %bb.11:
	s_waitcnt vmcnt(0)
	v_add_f32_e32 v43, v32, v36
	v_sub_f32_e32 v38, v33, v37
	v_add_f32_e32 v44, v28, v34
	v_mul_f32_e32 v48, 0x3f6eb680, v43
	v_sub_f32_e32 v39, v29, v35
	v_add_f32_e32 v45, v22, v30
	v_mov_b32_e32 v52, v48
	v_mul_f32_e32 v49, 0x3f3d2fb0, v44
	v_fmac_f32_e32 v48, 0xbeb8f4ab, v38
	v_sub_f32_e32 v40, v23, v31
	v_add_f32_e32 v46, v20, v24
	v_mov_b32_e32 v53, v49
	v_mul_f32_e32 v50, 0x3ee437d1, v45
	v_add_f32_e32 v48, v26, v48
	v_fmac_f32_e32 v49, 0xbf2c7751, v39
	v_sub_f32_e32 v41, v21, v25
	v_mov_b32_e32 v54, v50
	v_add_f32_e32 v48, v48, v49
	v_mul_f32_e32 v49, 0x3dbcf732, v46
	v_fmac_f32_e32 v50, 0xbf65296c, v40
	v_add_f32_e32 v47, v16, v18
	v_add_f32_e32 v48, v48, v50
	v_mov_b32_e32 v55, v49
	v_fmac_f32_e32 v49, 0xbf7ee86f, v41
	v_sub_f32_e32 v42, v17, v19
	v_add_f32_e32 v48, v48, v49
	v_mul_f32_e32 v49, 0xbe8c1d8e, v47
	v_mov_b32_e32 v56, v49
	v_fmac_f32_e32 v49, 0xbf763a35, v42
	v_add_f32_e32 v57, v12, v14
	v_add_f32_e32 v48, v49, v48
	v_sub_f32_e32 v58, v13, v15
	v_mul_f32_e32 v49, 0xbf1a4643, v57
	v_mov_b32_e32 v59, v49
	v_fmac_f32_e32 v49, 0xbf4c4adb, v58
	v_add_f32_e32 v60, v8, v10
	v_add_f32_e32 v48, v49, v48
	v_sub_f32_e32 v61, v9, v11
	;; [unrolled: 6-line block ×3, first 2 shown]
	v_mul_f32_e32 v49, 0xbf7ba420, v63
	v_mov_b32_e32 v65, v49
	v_fmac_f32_e32 v49, 0xbe3c28d5, v64
	v_add_f32_e32 v49, v49, v48
	v_add_f32_e32 v48, v26, v32
	;; [unrolled: 1-line block ×17, first 2 shown]
	v_mul_u32_u24_e32 v48, 0x44, v0
	v_add3_u32 v48, 0, v48, v1
	ds_write2_b32 v48, v50, v49 offset1:1
	v_mul_f32_e32 v50, 0xbf7ba420, v43
	v_mov_b32_e32 v49, v50
	v_mul_f32_e32 v51, 0x3f6eb680, v44
	v_fmac_f32_e32 v49, 0x3e3c28d5, v38
	v_mov_b32_e32 v66, v51
	v_add_f32_e32 v49, v26, v49
	v_fmac_f32_e32 v66, 0xbeb8f4ab, v39
	v_add_f32_e32 v49, v49, v66
	v_mul_f32_e32 v66, 0xbf59a7d5, v45
	v_mov_b32_e32 v67, v66
	v_fmac_f32_e32 v67, 0x3f06c442, v40
	v_add_f32_e32 v49, v49, v67
	v_mul_f32_e32 v67, 0x3f3d2fb0, v46
	v_mov_b32_e32 v68, v67
	;; [unrolled: 4-line block ×3, first 2 shown]
	v_fmac_f32_e32 v69, 0x3f4c4adb, v42
	v_add_f32_e32 v49, v69, v49
	v_mul_f32_e32 v69, 0x3ee437d1, v57
	v_fmac_f32_e32 v50, 0xbe3c28d5, v38
	v_mov_b32_e32 v70, v69
	v_add_f32_e32 v50, v26, v50
	v_fmac_f32_e32 v51, 0x3eb8f4ab, v39
	v_fmac_f32_e32 v70, 0xbf65296c, v58
	v_add_f32_e32 v50, v50, v51
	v_fmac_f32_e32 v66, 0xbf06c442, v40
	v_add_f32_e32 v49, v70, v49
	v_mul_f32_e32 v70, 0xbe8c1d8e, v60
	v_add_f32_e32 v50, v50, v66
	v_fmac_f32_e32 v67, 0x3f2c7751, v41
	v_mov_b32_e32 v71, v70
	v_add_f32_e32 v50, v50, v67
	v_fmac_f32_e32 v68, 0xbf4c4adb, v42
	v_fmac_f32_e32 v71, 0x3f763a35, v61
	v_add_f32_e32 v50, v68, v50
	v_fmac_f32_e32 v69, 0x3f65296c, v58
	v_add_f32_e32 v49, v71, v49
	v_mul_f32_e32 v71, 0x3dbcf732, v63
	v_add_f32_e32 v50, v69, v50
	v_fmac_f32_e32 v70, 0xbf763a35, v61
	v_mov_b32_e32 v72, v71
	v_add_f32_e32 v50, v70, v50
	v_fmac_f32_e32 v71, 0x3f7ee86f, v64
	v_mul_f32_e32 v66, 0xbf59a7d5, v43
	v_add_f32_e32 v51, v71, v50
	v_mov_b32_e32 v50, v66
	v_mul_f32_e32 v67, 0x3ee437d1, v44
	v_fmac_f32_e32 v50, 0x3f06c442, v38
	v_mov_b32_e32 v68, v67
	v_add_f32_e32 v50, v26, v50
	v_fmac_f32_e32 v68, 0xbf65296c, v39
	v_add_f32_e32 v50, v50, v68
	v_mul_f32_e32 v68, 0x3dbcf732, v45
	v_mov_b32_e32 v69, v68
	v_fmac_f32_e32 v69, 0x3f7ee86f, v40
	v_add_f32_e32 v50, v50, v69
	v_mul_f32_e32 v69, 0xbf1a4643, v46
	v_fmac_f32_e32 v66, 0xbf06c442, v38
	v_mov_b32_e32 v70, v69
	v_add_f32_e32 v66, v26, v66
	v_fmac_f32_e32 v67, 0x3f65296c, v39
	v_fmac_f32_e32 v70, 0xbf4c4adb, v41
	v_add_f32_e32 v66, v66, v67
	v_fmac_f32_e32 v68, 0xbf7ee86f, v40
	v_add_f32_e32 v50, v50, v70
	v_mul_f32_e32 v70, 0x3f6eb680, v47
	v_add_f32_e32 v66, v66, v68
	v_fmac_f32_e32 v69, 0x3f4c4adb, v41
	v_mul_f32_e32 v67, 0xbf1a4643, v43
	v_mov_b32_e32 v71, v70
	v_add_f32_e32 v66, v66, v69
	v_fmac_f32_e32 v70, 0xbeb8f4ab, v42
	v_mov_b32_e32 v68, v67
	v_mul_f32_e32 v69, 0xbe8c1d8e, v44
	v_fmac_f32_e32 v71, 0x3eb8f4ab, v42
	v_add_f32_e32 v66, v70, v66
	v_fmac_f32_e32 v68, 0x3f4c4adb, v38
	v_mov_b32_e32 v70, v69
	v_fmac_f32_e32 v72, 0xbf7ee86f, v64
	v_add_f32_e32 v50, v71, v50
	v_mul_f32_e32 v71, 0xbf7ba420, v57
	v_add_f32_e32 v68, v26, v68
	v_fmac_f32_e32 v70, 0xbf763a35, v39
	v_add_f32_e32 v49, v72, v49
	v_mov_b32_e32 v72, v71
	v_fmac_f32_e32 v71, 0xbe3c28d5, v58
	v_add_f32_e32 v68, v68, v70
	v_mul_f32_e32 v70, 0x3f6eb680, v45
	v_fmac_f32_e32 v72, 0x3e3c28d5, v58
	v_add_f32_e32 v66, v71, v66
	v_mov_b32_e32 v71, v70
	v_add_f32_e32 v50, v72, v50
	v_mul_f32_e32 v72, 0x3f3d2fb0, v60
	v_fmac_f32_e32 v71, 0x3eb8f4ab, v40
	v_mov_b32_e32 v73, v72
	v_fmac_f32_e32 v72, 0x3f2c7751, v61
	v_add_f32_e32 v68, v68, v71
	v_mul_f32_e32 v71, 0xbf59a7d5, v46
	v_fmac_f32_e32 v67, 0xbf4c4adb, v38
	v_fmac_f32_e32 v73, 0xbf2c7751, v61
	v_add_f32_e32 v66, v72, v66
	v_mov_b32_e32 v72, v71
	v_add_f32_e32 v67, v26, v67
	v_fmac_f32_e32 v69, 0x3f763a35, v39
	v_add_f32_e32 v50, v73, v50
	v_mul_f32_e32 v73, 0xbe8c1d8e, v63
	v_fmac_f32_e32 v72, 0x3f06c442, v41
	v_add_f32_e32 v67, v67, v69
	v_fmac_f32_e32 v70, 0xbeb8f4ab, v40
	v_mov_b32_e32 v74, v73
	v_fmac_f32_e32 v73, 0xbf763a35, v64
	v_add_f32_e32 v68, v68, v72
	v_mul_f32_e32 v72, 0x3dbcf732, v47
	v_add_f32_e32 v67, v67, v70
	v_fmac_f32_e32 v71, 0xbf06c442, v41
	v_mul_f32_e32 v69, 0xbe8c1d8e, v43
	v_add_f32_e32 v66, v73, v66
	v_mov_b32_e32 v73, v72
	v_add_f32_e32 v67, v67, v71
	v_fmac_f32_e32 v72, 0x3f7ee86f, v42
	v_mov_b32_e32 v70, v69
	v_mul_f32_e32 v71, 0xbf59a7d5, v44
	v_fmac_f32_e32 v73, 0xbf7ee86f, v42
	v_add_f32_e32 v67, v72, v67
	v_fmac_f32_e32 v70, 0x3f763a35, v38
	v_mov_b32_e32 v72, v71
	v_fmac_f32_e32 v74, 0x3f763a35, v64
	v_add_f32_e32 v68, v73, v68
	v_mul_f32_e32 v73, 0x3f3d2fb0, v57
	v_add_f32_e32 v70, v26, v70
	v_fmac_f32_e32 v72, 0xbf06c442, v39
	v_add_f32_e32 v50, v74, v50
	v_mov_b32_e32 v74, v73
	v_fmac_f32_e32 v73, 0xbf2c7751, v58
	v_add_f32_e32 v70, v70, v72
	v_mul_f32_e32 v72, 0x3f3d2fb0, v45
	v_fmac_f32_e32 v74, 0x3f2c7751, v58
	v_add_f32_e32 v67, v73, v67
	v_mov_b32_e32 v73, v72
	v_add_f32_e32 v68, v74, v68
	v_mul_f32_e32 v74, 0xbf7ba420, v60
	v_fmac_f32_e32 v73, 0xbf2c7751, v40
	v_mov_b32_e32 v75, v74
	v_fmac_f32_e32 v74, 0xbe3c28d5, v61
	v_add_f32_e32 v70, v70, v73
	v_mul_f32_e32 v73, 0x3ee437d1, v46
	v_fmac_f32_e32 v69, 0xbf763a35, v38
	v_fmac_f32_e32 v75, 0x3e3c28d5, v61
	v_add_f32_e32 v67, v74, v67
	v_mov_b32_e32 v74, v73
	v_add_f32_e32 v69, v26, v69
	v_fmac_f32_e32 v71, 0x3f06c442, v39
	v_add_f32_e32 v68, v75, v68
	v_mul_f32_e32 v75, 0x3ee437d1, v63
	v_fmac_f32_e32 v74, 0x3f65296c, v41
	v_add_f32_e32 v69, v69, v71
	v_fmac_f32_e32 v72, 0x3f2c7751, v40
	v_mov_b32_e32 v76, v75
	v_fmac_f32_e32 v75, 0x3f65296c, v64
	v_add_f32_e32 v70, v70, v74
	v_mul_f32_e32 v74, 0xbf7ba420, v47
	v_add_f32_e32 v69, v69, v72
	v_fmac_f32_e32 v73, 0xbf65296c, v41
	v_mul_f32_e32 v71, 0x3dbcf732, v43
	v_add_f32_e32 v67, v75, v67
	;; [unrolled: 48-line block ×3, first 2 shown]
	v_mov_b32_e32 v77, v76
	v_add_f32_e32 v71, v71, v75
	v_fmac_f32_e32 v76, 0xbf65296c, v42
	v_mov_b32_e32 v74, v73
	v_mul_f32_e32 v75, 0xbf1a4643, v44
	v_fmac_f32_e32 v77, 0x3f65296c, v42
	v_add_f32_e32 v71, v76, v71
	v_fmac_f32_e32 v74, 0x3f65296c, v38
	v_mov_b32_e32 v76, v75
	v_fmac_f32_e32 v78, 0x3f4c4adb, v64
	v_add_f32_e32 v72, v77, v72
	v_mul_f32_e32 v77, 0xbf59a7d5, v57
	v_add_f32_e32 v74, v26, v74
	v_fmac_f32_e32 v76, 0x3f4c4adb, v39
	v_add_f32_e32 v70, v78, v70
	v_mov_b32_e32 v78, v77
	v_fmac_f32_e32 v77, 0xbf06c442, v58
	v_add_f32_e32 v74, v74, v76
	v_mul_f32_e32 v76, 0xbf7ba420, v45
	v_fmac_f32_e32 v78, 0x3f06c442, v58
	v_add_f32_e32 v71, v77, v71
	v_mov_b32_e32 v77, v76
	v_fmac_f32_e32 v73, 0xbf65296c, v38
	v_add_f32_e32 v72, v78, v72
	v_mul_f32_e32 v78, 0xbf1a4643, v60
	v_fmac_f32_e32 v77, 0xbe3c28d5, v40
	v_add_f32_e32 v73, v26, v73
	v_fmac_f32_e32 v75, 0xbf4c4adb, v39
	v_mul_f32_e32 v43, 0x3f3d2fb0, v43
	v_mov_b32_e32 v79, v78
	v_fmac_f32_e32 v78, 0x3f4c4adb, v61
	v_add_f32_e32 v74, v74, v77
	v_mul_f32_e32 v77, 0xbe8c1d8e, v46
	v_add_f32_e32 v73, v73, v75
	v_fmac_f32_e32 v76, 0x3e3c28d5, v40
	v_mov_b32_e32 v75, v43
	v_mul_f32_e32 v44, 0x3dbcf732, v44
	v_fmac_f32_e32 v79, 0xbf4c4adb, v61
	v_add_f32_e32 v71, v78, v71
	v_mov_b32_e32 v78, v77
	v_add_f32_e32 v73, v73, v76
	v_fmac_f32_e32 v75, 0x3f2c7751, v38
	v_mov_b32_e32 v76, v44
	v_add_f32_e32 v72, v79, v72
	v_mul_f32_e32 v79, 0x3f3d2fb0, v63
	v_fmac_f32_e32 v78, 0xbf763a35, v41
	v_add_f32_e32 v75, v26, v75
	v_fmac_f32_e32 v76, 0x3f7ee86f, v39
	v_mul_f32_e32 v45, 0xbf1a4643, v45
	v_mov_b32_e32 v80, v79
	v_fmac_f32_e32 v79, 0x3f2c7751, v64
	v_add_f32_e32 v74, v74, v78
	v_mul_f32_e32 v78, 0x3f3d2fb0, v47
	v_add_f32_e32 v75, v75, v76
	v_mov_b32_e32 v76, v45
	v_add_f32_e32 v71, v79, v71
	v_mov_b32_e32 v79, v78
	v_fmac_f32_e32 v76, 0x3f4c4adb, v40
	v_mul_f32_e32 v46, 0xbf7ba420, v46
	v_fmac_f32_e32 v79, 0xbf2c7751, v42
	v_add_f32_e32 v75, v75, v76
	v_mov_b32_e32 v76, v46
	v_fmac_f32_e32 v80, 0xbf2c7751, v64
	v_add_f32_e32 v74, v79, v74
	v_mul_f32_e32 v79, 0x3f6eb680, v57
	v_fmac_f32_e32 v76, 0x3e3c28d5, v41
	v_mul_f32_e32 v47, 0xbf59a7d5, v47
	v_fmac_f32_e32 v43, 0xbf2c7751, v38
	v_add_f32_e32 v72, v80, v72
	v_mov_b32_e32 v80, v79
	v_add_f32_e32 v75, v75, v76
	v_mov_b32_e32 v76, v47
	v_add_f32_e32 v43, v26, v43
	v_fmac_f32_e32 v44, 0xbf7ee86f, v39
	v_fmac_f32_e32 v52, 0x3eb8f4ab, v38
	;; [unrolled: 1-line block ×4, first 2 shown]
	v_mul_f32_e32 v57, 0xbe8c1d8e, v57
	v_add_f32_e32 v43, v43, v44
	v_fmac_f32_e32 v45, 0xbf4c4adb, v40
	v_fmac_f32_e32 v53, 0x3f2c7751, v39
	v_add_f32_e32 v26, v26, v52
	v_add_f32_e32 v74, v80, v74
	v_mul_f32_e32 v80, 0x3dbcf732, v60
	v_fmac_f32_e32 v77, 0x3f763a35, v41
	v_add_f32_e32 v75, v76, v75
	v_mov_b32_e32 v76, v57
	v_add_f32_e32 v43, v43, v45
	v_fmac_f32_e32 v46, 0xbe3c28d5, v41
	v_add_f32_e32 v26, v26, v53
	v_fmac_f32_e32 v54, 0x3f65296c, v40
	v_mov_b32_e32 v81, v80
	v_add_f32_e32 v73, v73, v77
	v_fmac_f32_e32 v78, 0x3f2c7751, v42
	v_fmac_f32_e32 v76, 0xbf763a35, v58
	v_mul_f32_e32 v60, 0x3ee437d1, v60
	v_add_f32_e32 v43, v43, v46
	v_fmac_f32_e32 v47, 0x3f06c442, v42
	v_add_f32_e32 v26, v26, v54
	v_fmac_f32_e32 v55, 0x3f7ee86f, v41
	v_fmac_f32_e32 v81, 0x3f7ee86f, v61
	v_add_f32_e32 v73, v78, v73
	v_fmac_f32_e32 v79, 0xbeb8f4ab, v58
	v_add_f32_e32 v75, v76, v75
	v_mov_b32_e32 v76, v60
	v_add_f32_e32 v43, v47, v43
	v_fmac_f32_e32 v57, 0x3f763a35, v58
	v_add_f32_e32 v26, v26, v55
	v_fmac_f32_e32 v56, 0x3f763a35, v42
	v_add_f32_e32 v74, v81, v74
	v_mul_f32_e32 v81, 0xbf59a7d5, v63
	v_add_f32_e32 v73, v79, v73
	v_fmac_f32_e32 v80, 0xbf7ee86f, v61
	v_fmac_f32_e32 v76, 0xbf65296c, v61
	v_mul_f32_e32 v63, 0x3f6eb680, v63
	v_add_f32_e32 v43, v57, v43
	v_fmac_f32_e32 v60, 0x3f65296c, v61
	v_add_f32_e32 v26, v56, v26
	v_fmac_f32_e32 v59, 0x3f4c4adb, v58
	v_mov_b32_e32 v82, v81
	v_add_f32_e32 v73, v80, v73
	v_fmac_f32_e32 v81, 0xbf06c442, v64
	v_add_f32_e32 v75, v76, v75
	v_mov_b32_e32 v76, v63
	v_add_f32_e32 v43, v60, v43
	v_fmac_f32_e32 v63, 0x3eb8f4ab, v64
	v_add_f32_e32 v26, v59, v26
	v_fmac_f32_e32 v62, 0x3f06c442, v61
	v_fmac_f32_e32 v82, 0x3f06c442, v64
	v_add_f32_e32 v73, v81, v73
	v_fmac_f32_e32 v76, 0xbeb8f4ab, v64
	v_add_f32_e32 v43, v63, v43
	v_add_f32_e32 v26, v62, v26
	v_fmac_f32_e32 v65, 0x3e3c28d5, v64
	v_add_f32_e32 v74, v82, v74
	v_add_f32_e32 v75, v76, v75
	;; [unrolled: 1-line block ×3, first 2 shown]
	ds_write2_b32 v48, v43, v73 offset0:2 offset1:3
	ds_write2_b32 v48, v71, v69 offset0:4 offset1:5
	ds_write2_b32 v48, v67, v66 offset0:6 offset1:7
	ds_write2_b32 v48, v51, v49 offset0:8 offset1:9
	ds_write2_b32 v48, v50, v68 offset0:10 offset1:11
	ds_write2_b32 v48, v70, v72 offset0:12 offset1:13
	ds_write2_b32 v48, v74, v75 offset0:14 offset1:15
	ds_write_b32 v48, v26 offset:64
.LBB0_12:
	s_or_b64 exec, exec, s[2:3]
	v_lshlrev_b32_e32 v38, 2, v0
	v_add_u32_e32 v53, 0, v38
	v_add_u32_e32 v50, v53, v1
	s_waitcnt lgkmcnt(0)
	; wave barrier
	s_waitcnt vmcnt(16) lgkmcnt(0)
	v_add3_u32 v26, 0, v1, v38
	ds_read2_b32 v[38:39], v50 offset0:17 offset1:34
	ds_read2_b32 v[48:49], v50 offset0:51 offset1:68
	;; [unrolled: 1-line block ×6, first 2 shown]
	ds_read_b32 v51, v26
	ds_read_b32 v52, v50 offset:884
	s_waitcnt lgkmcnt(0)
	; wave barrier
	s_waitcnt lgkmcnt(0)
	s_and_saveexec_b64 s[2:3], s[0:1]
	s_cbranch_execz .LBB0_14
; %bb.13:
	s_waitcnt vmcnt(15)
	v_add_f32_e32 v54, v27, v33
	s_waitcnt vmcnt(14)
	v_add_f32_e32 v54, v54, v29
	;; [unrolled: 2-line block ×14, first 2 shown]
	s_waitcnt vmcnt(0)
	v_sub_f32_e32 v32, v32, v36
	v_add_f32_e32 v54, v35, v54
	v_add_f32_e32 v33, v33, v37
	v_mul_f32_e32 v36, 0xbeb8f4ab, v32
	s_mov_b32 s6, 0x3f6eb680
	v_mul_f32_e32 v55, 0xbf2c7751, v32
	s_mov_b32 s4, 0x3f3d2fb0
	;; [unrolled: 2-line block ×8, first 2 shown]
	v_add_f32_e32 v54, v37, v54
	v_fma_f32 v37, v33, s6, -v36
	v_fmac_f32_e32 v36, 0x3f6eb680, v33
	v_fma_f32 v56, v33, s4, -v55
	v_fmac_f32_e32 v55, 0x3f3d2fb0, v33
	;; [unrolled: 2-line block ×8, first 2 shown]
	v_sub_f32_e32 v28, v28, v34
	v_add_f32_e32 v37, v27, v37
	v_add_f32_e32 v36, v27, v36
	v_add_f32_e32 v56, v27, v56
	v_add_f32_e32 v55, v27, v55
	v_add_f32_e32 v58, v27, v58
	v_add_f32_e32 v57, v27, v57
	v_add_f32_e32 v60, v27, v60
	v_add_f32_e32 v59, v27, v59
	v_add_f32_e32 v62, v27, v62
	v_add_f32_e32 v61, v27, v61
	v_add_f32_e32 v64, v27, v64
	v_add_f32_e32 v63, v27, v63
	v_add_f32_e32 v66, v27, v66
	v_add_f32_e32 v65, v27, v65
	v_add_f32_e32 v67, v27, v67
	v_add_f32_e32 v27, v27, v32
	v_add_f32_e32 v29, v29, v35
	v_mul_f32_e32 v32, 0xbf2c7751, v28
	v_fma_f32 v33, v29, s4, -v32
	v_fmac_f32_e32 v32, 0x3f3d2fb0, v29
	v_mul_f32_e32 v34, 0xbf7ee86f, v28
	v_add_f32_e32 v32, v36, v32
	v_fma_f32 v35, v29, s0, -v34
	v_fmac_f32_e32 v34, 0x3dbcf732, v29
	v_mul_f32_e32 v36, 0xbf4c4adb, v28
	v_add_f32_e32 v33, v37, v33
	v_add_f32_e32 v34, v55, v34
	v_fma_f32 v37, v29, s7, -v36
	v_fmac_f32_e32 v36, 0xbf1a4643, v29
	v_mul_f32_e32 v55, 0xbe3c28d5, v28
	v_add_f32_e32 v35, v56, v35
	;; [unrolled: 5-line block ×4, first 2 shown]
	v_add_f32_e32 v57, v61, v57
	v_fma_f32 v60, v29, s5, -v59
	v_fmac_f32_e32 v59, 0xbe8c1d8e, v29
	v_mul_f32_e32 v61, 0x3f65296c, v28
	v_mul_f32_e32 v28, 0x3eb8f4ab, v28
	v_add_f32_e32 v59, v63, v59
	v_fma_f32 v63, v29, s6, -v28
	v_fmac_f32_e32 v28, 0x3f6eb680, v29
	v_sub_f32_e32 v22, v22, v30
	v_add_f32_e32 v27, v27, v28
	v_add_f32_e32 v23, v23, v31
	v_mul_f32_e32 v28, 0xbf65296c, v22
	v_add_f32_e32 v58, v62, v58
	v_fma_f32 v62, v29, s1, -v61
	v_fmac_f32_e32 v61, 0x3ee437d1, v29
	v_fma_f32 v29, v23, s1, -v28
	v_fmac_f32_e32 v28, 0x3ee437d1, v23
	v_mul_f32_e32 v30, 0xbf4c4adb, v22
	v_add_f32_e32 v28, v32, v28
	v_fma_f32 v31, v23, s7, -v30
	v_fmac_f32_e32 v30, 0xbf1a4643, v23
	v_mul_f32_e32 v32, 0x3e3c28d5, v22
	v_add_f32_e32 v29, v33, v29
	v_add_f32_e32 v30, v34, v30
	v_fma_f32 v33, v23, s11, -v32
	v_fmac_f32_e32 v32, 0xbf7ba420, v23
	v_mul_f32_e32 v34, 0x3f763a35, v22
	v_add_f32_e32 v31, v35, v31
	;; [unrolled: 5-line block ×4, first 2 shown]
	v_add_f32_e32 v36, v57, v36
	v_fma_f32 v56, v23, s6, -v55
	v_fmac_f32_e32 v55, 0x3f6eb680, v23
	v_mul_f32_e32 v57, 0xbf7ee86f, v22
	v_mul_f32_e32 v22, 0xbf06c442, v22
	v_sub_f32_e32 v20, v20, v24
	v_add_f32_e32 v37, v58, v37
	v_add_f32_e32 v55, v59, v55
	v_fma_f32 v58, v23, s0, -v57
	v_fmac_f32_e32 v57, 0x3dbcf732, v23
	v_fma_f32 v59, v23, s10, -v22
	v_fmac_f32_e32 v22, 0xbf59a7d5, v23
	v_add_f32_e32 v21, v21, v25
	v_mul_f32_e32 v23, 0xbf7ee86f, v20
	v_fma_f32 v24, v21, s0, -v23
	v_fmac_f32_e32 v23, 0x3dbcf732, v21
	v_mul_f32_e32 v25, 0xbe3c28d5, v20
	v_add_f32_e32 v22, v27, v22
	v_add_f32_e32 v23, v28, v23
	v_fma_f32 v27, v21, s11, -v25
	v_fmac_f32_e32 v25, 0xbf7ba420, v21
	v_mul_f32_e32 v28, 0x3f763a35, v20
	v_add_f32_e32 v24, v29, v24
	v_add_f32_e32 v25, v30, v25
	v_fma_f32 v29, v21, s5, -v28
	v_fmac_f32_e32 v28, 0xbe8c1d8e, v21
	v_mul_f32_e32 v30, 0x3eb8f4ab, v20
	v_add_f32_e32 v27, v31, v27
	v_add_f32_e32 v28, v32, v28
	v_fma_f32 v31, v21, s6, -v30
	v_fmac_f32_e32 v30, 0x3f6eb680, v21
	v_mul_f32_e32 v32, 0xbf65296c, v20
	v_add_f32_e32 v29, v33, v29
	v_add_f32_e32 v30, v34, v30
	v_fma_f32 v33, v21, s1, -v32
	v_fmac_f32_e32 v32, 0x3ee437d1, v21
	v_mul_f32_e32 v34, 0xbf06c442, v20
	v_sub_f32_e32 v16, v16, v18
	v_add_f32_e32 v31, v35, v31
	v_add_f32_e32 v32, v36, v32
	v_fma_f32 v35, v21, s10, -v34
	v_fmac_f32_e32 v34, 0xbf59a7d5, v21
	v_mul_f32_e32 v36, 0x3f4c4adb, v20
	v_mul_f32_e32 v20, 0x3f2c7751, v20
	v_add_f32_e32 v17, v17, v19
	v_mul_f32_e32 v18, 0xbf763a35, v16
	v_add_f32_e32 v33, v37, v33
	v_add_f32_e32 v34, v55, v34
	v_fma_f32 v37, v21, s7, -v36
	v_fmac_f32_e32 v36, 0xbf1a4643, v21
	v_fma_f32 v55, v21, s4, -v20
	v_fmac_f32_e32 v20, 0x3f3d2fb0, v21
	v_fma_f32 v19, v17, s5, -v18
	v_fmac_f32_e32 v18, 0xbe8c1d8e, v17
	v_mul_f32_e32 v21, 0x3f06c442, v16
	v_add_f32_e32 v20, v22, v20
	v_add_f32_e32 v18, v18, v23
	v_fma_f32 v22, v17, s10, -v21
	v_fmac_f32_e32 v21, 0xbf59a7d5, v17
	v_mul_f32_e32 v23, 0x3f2c7751, v16
	v_add_f32_e32 v19, v19, v24
	v_add_f32_e32 v21, v21, v25
	v_fma_f32 v24, v17, s4, -v23
	v_fmac_f32_e32 v23, 0x3f3d2fb0, v17
	v_mul_f32_e32 v25, 0xbf65296c, v16
	v_add_f32_e32 v22, v22, v27
	v_add_f32_e32 v23, v23, v28
	v_fma_f32 v27, v17, s1, -v25
	v_fmac_f32_e32 v25, 0x3ee437d1, v17
	v_mul_f32_e32 v28, 0xbe3c28d5, v16
	v_add_f32_e32 v24, v24, v29
	v_add_f32_e32 v25, v25, v30
	v_fma_f32 v29, v17, s11, -v28
	v_fmac_f32_e32 v28, 0xbf7ba420, v17
	v_mul_f32_e32 v30, 0x3f7ee86f, v16
	v_sub_f32_e32 v12, v12, v14
	v_add_f32_e32 v27, v27, v31
	v_add_f32_e32 v28, v28, v32
	v_fma_f32 v31, v17, s0, -v30
	v_fmac_f32_e32 v30, 0x3dbcf732, v17
	v_mul_f32_e32 v32, 0xbeb8f4ab, v16
	v_mul_f32_e32 v16, 0xbf4c4adb, v16
	v_add_f32_e32 v13, v13, v15
	v_mul_f32_e32 v14, 0xbf4c4adb, v12
	v_add_f32_e32 v29, v29, v33
	v_add_f32_e32 v30, v30, v34
	v_fma_f32 v33, v17, s6, -v32
	v_fmac_f32_e32 v32, 0x3f6eb680, v17
	v_fma_f32 v34, v17, s7, -v16
	v_fmac_f32_e32 v16, 0xbf1a4643, v17
	;; [unrolled: 38-line block ×4, first 2 shown]
	v_fma_f32 v7, v5, s11, -v6
	v_fmac_f32_e32 v6, 0xbf7ba420, v5
	v_mul_f32_e32 v9, 0x3eb8f4ab, v4
	v_add_f32_e32 v7, v7, v11
	v_add_f32_e32 v6, v6, v10
	v_fma_f32 v10, v5, s6, -v9
	v_fmac_f32_e32 v9, 0x3f6eb680, v5
	v_mul_f32_e32 v11, 0xbf06c442, v4
	v_add_f32_e32 v60, v64, v60
	v_add_f32_e32 v62, v66, v62
	v_add_f32_e32 v61, v65, v61
	v_add_f32_e32 v63, v67, v63
	v_add_f32_e32 v8, v8, v12
	v_add_f32_e32 v9, v9, v13
	v_fma_f32 v12, v5, s10, -v11
	v_fmac_f32_e32 v11, 0xbf59a7d5, v5
	v_mul_f32_e32 v13, 0x3f2c7751, v4
	v_add_f32_e32 v56, v60, v56
	v_add_f32_e32 v58, v62, v58
	v_add_f32_e32 v57, v61, v57
	v_add_f32_e32 v59, v63, v59
	;; [unrolled: 9-line block ×4, first 2 shown]
	v_add_f32_e32 v14, v14, v18
	v_add_f32_e32 v15, v15, v19
	v_fma_f32 v18, v5, s1, -v17
	v_fmac_f32_e32 v17, 0x3ee437d1, v5
	v_mul_f32_e32 v19, 0xbf763a35, v4
	v_mul_f32_e32 v4, 0x3f7ee86f, v4
	v_add_f32_e32 v27, v27, v31
	v_add_f32_e32 v29, v29, v33
	;; [unrolled: 1-line block ×6, first 2 shown]
	v_fma_f32 v20, v5, s5, -v19
	v_fmac_f32_e32 v19, 0xbe8c1d8e, v5
	v_fma_f32 v21, v5, s0, -v4
	v_fmac_f32_e32 v4, 0x3dbcf732, v5
	v_lshlrev_b32_e32 v5, 6, v0
	v_add_f32_e32 v22, v22, v27
	v_add_f32_e32 v24, v24, v29
	;; [unrolled: 1-line block ×4, first 2 shown]
	v_add3_u32 v1, v53, v5, v1
	v_add_f32_e32 v18, v18, v22
	v_add_f32_e32 v20, v20, v24
	;; [unrolled: 1-line block ×5, first 2 shown]
	ds_write2_b32 v1, v54, v7 offset1:1
	ds_write2_b32 v1, v10, v12 offset0:2 offset1:3
	ds_write2_b32 v1, v14, v16 offset0:4 offset1:5
	;; [unrolled: 1-line block ×7, first 2 shown]
	ds_write_b32 v1, v6 offset:64
.LBB0_14:
	s_or_b64 exec, exec, s[2:3]
	v_mul_u32_u24_e32 v1, 6, v0
	v_lshlrev_b32_e32 v1, 3, v1
	s_waitcnt lgkmcnt(0)
	; wave barrier
	s_waitcnt lgkmcnt(0)
	global_load_dwordx4 v[4:7], v1, s[8:9]
	global_load_dwordx4 v[8:11], v1, s[8:9] offset:16
	global_load_dwordx4 v[12:15], v1, s[8:9] offset:32
	s_waitcnt vmcnt(14)
	ds_read2_b32 v[16:17], v50 offset0:17 offset1:34
	s_waitcnt vmcnt(7)
	ds_read2_b32 v[18:19], v50 offset0:51 offset1:68
	ds_read2_b32 v[20:21], v50 offset0:85 offset1:102
	;; [unrolled: 1-line block ×3, first 2 shown]
	s_waitcnt vmcnt(6)
	ds_read2_b32 v[24:25], v50 offset0:153 offset1:170
	ds_read2_b32 v[27:28], v50 offset0:187 offset1:204
	ds_read_b32 v1, v26
	ds_read_b32 v29, v50 offset:884
	s_mov_b32 s0, 0xbf5ff5aa
	s_mov_b32 s1, 0x3f3bfb3b
	;; [unrolled: 1-line block ×4, first 2 shown]
	s_waitcnt lgkmcnt(0)
	; wave barrier
	s_waitcnt vmcnt(2) lgkmcnt(0)
	v_mul_f32_e32 v30, v17, v5
	v_mul_f32_e32 v32, v19, v7
	s_waitcnt vmcnt(0)
	v_mul_f32_e32 v53, v25, v13
	v_mul_f32_e32 v55, v28, v15
	;; [unrolled: 1-line block ×20, first 2 shown]
	v_fmac_f32_e32 v30, v39, v4
	v_fmac_f32_e32 v32, v49, v6
	;; [unrolled: 1-line block ×4, first 2 shown]
	v_fma_f32 v17, v17, v4, -v31
	v_fma_f32 v19, v19, v6, -v33
	v_fmac_f32_e32 v34, v47, v8
	v_fma_f32 v21, v21, v8, -v35
	v_fmac_f32_e32 v36, v45, v10
	v_fma_f32 v23, v23, v10, -v37
	v_fma_f32 v25, v25, v12, -v54
	v_fma_f32 v28, v28, v14, -v56
	v_fmac_f32_e32 v57, v48, v4
	v_fma_f32 v4, v18, v4, -v5
	v_fmac_f32_e32 v58, v46, v6
	v_fma_f32 v5, v20, v6, -v7
	v_fma_f32 v6, v22, v8, -v9
	v_fmac_f32_e32 v60, v42, v10
	v_fma_f32 v7, v24, v10, -v11
	v_fmac_f32_e32 v62, v52, v14
	v_fma_f32 v9, v29, v14, -v15
	v_add_f32_e32 v10, v30, v55
	v_add_f32_e32 v14, v32, v53
	v_add_f32_e32 v11, v17, v28
	v_add_f32_e32 v15, v19, v25
	v_sub_f32_e32 v18, v19, v25
	v_add_f32_e32 v19, v34, v36
	v_add_f32_e32 v20, v21, v23
	v_sub_f32_e32 v21, v23, v21
	v_add_f32_e32 v23, v14, v10
	v_mul_f32_e32 v61, v27, v13
	v_mul_f32_e32 v13, v40, v13
	v_add_f32_e32 v24, v15, v11
	v_sub_f32_e32 v25, v14, v10
	v_sub_f32_e32 v10, v10, v19
	;; [unrolled: 1-line block ×3, first 2 shown]
	v_add_f32_e32 v19, v19, v23
	v_fmac_f32_e32 v59, v44, v8
	v_fmac_f32_e32 v61, v40, v12
	v_fma_f32 v8, v27, v12, -v13
	v_sub_f32_e32 v12, v30, v55
	v_sub_f32_e32 v13, v17, v28
	;; [unrolled: 1-line block ×7, first 2 shown]
	v_add_f32_e32 v20, v20, v24
	v_add_f32_e32 v23, v51, v19
	;; [unrolled: 1-line block ×4, first 2 shown]
	v_sub_f32_e32 v30, v22, v17
	v_sub_f32_e32 v31, v21, v18
	;; [unrolled: 1-line block ×4, first 2 shown]
	v_add_f32_e32 v1, v1, v20
	v_mov_b32_e32 v33, v23
	v_sub_f32_e32 v22, v12, v22
	v_sub_f32_e32 v21, v13, v21
	v_add_f32_e32 v12, v28, v12
	v_add_f32_e32 v13, v29, v13
	v_mul_f32_e32 v10, 0x3f4a47b2, v10
	v_mul_f32_e32 v11, 0x3f4a47b2, v11
	v_mul_f32_e32 v24, 0x3d64c772, v14
	v_mul_f32_e32 v28, 0x3d64c772, v15
	v_mul_f32_e32 v29, 0x3f08b237, v30
	v_mul_f32_e32 v30, 0x3f08b237, v31
	v_mul_f32_e32 v31, 0xbf5ff5aa, v17
	v_mul_f32_e32 v32, 0xbf5ff5aa, v18
	v_fmac_f32_e32 v33, 0xbf955555, v19
	v_mov_b32_e32 v19, v1
	v_fmac_f32_e32 v19, 0xbf955555, v20
	v_fma_f32 v20, v25, s1, -v24
	v_fma_f32 v24, v27, s1, -v28
	v_fma_f32 v25, v25, s2, -v10
	v_fmac_f32_e32 v10, 0x3d64c772, v14
	v_fma_f32 v14, v27, s2, -v11
	v_fmac_f32_e32 v11, 0x3d64c772, v15
	v_fma_f32 v15, v17, s0, -v29
	;; [unrolled: 2-line block ×4, first 2 shown]
	v_fma_f32 v21, v21, s3, -v32
	v_add_f32_e32 v11, v11, v19
	v_add_f32_e32 v20, v20, v33
	;; [unrolled: 1-line block ×5, first 2 shown]
	v_fmac_f32_e32 v29, 0xbee1c552, v12
	v_fmac_f32_e32 v15, 0xbee1c552, v12
	;; [unrolled: 1-line block ×5, first 2 shown]
	v_add_f32_e32 v10, v10, v33
	v_fmac_f32_e32 v30, 0xbee1c552, v13
	v_sub_f32_e32 v19, v11, v29
	v_add_f32_e32 v13, v21, v24
	v_sub_f32_e32 v25, v14, v18
	v_sub_f32_e32 v27, v20, v17
	v_add_f32_e32 v28, v15, v22
	v_add_f32_e32 v17, v17, v20
	v_sub_f32_e32 v20, v22, v15
	v_sub_f32_e32 v15, v24, v21
	v_add_f32_e32 v18, v18, v14
	v_add_f32_e32 v21, v29, v11
	v_add_f32_e32 v11, v57, v62
	v_add_f32_e32 v14, v4, v9
	v_sub_f32_e32 v4, v4, v9
	v_add_f32_e32 v9, v58, v61
	v_add_f32_e32 v12, v30, v10
	v_sub_f32_e32 v10, v10, v30
	v_add_f32_e32 v24, v5, v8
	v_sub_f32_e32 v5, v5, v8
	v_add_f32_e32 v8, v59, v60
	v_add_f32_e32 v30, v6, v7
	v_sub_f32_e32 v6, v7, v6
	v_add_f32_e32 v7, v9, v11
	v_add_f32_e32 v32, v24, v14
	v_add_f32_e32 v7, v8, v7
	v_sub_f32_e32 v22, v57, v62
	v_sub_f32_e32 v29, v58, v61
	;; [unrolled: 1-line block ×9, first 2 shown]
	v_add_f32_e32 v8, v30, v32
	v_add_f32_e32 v30, v38, v7
	v_add_f32_e32 v35, v31, v29
	v_add_f32_e32 v36, v6, v5
	v_sub_f32_e32 v37, v31, v29
	v_sub_f32_e32 v39, v6, v5
	;; [unrolled: 1-line block ×4, first 2 shown]
	v_add_f32_e32 v32, v16, v8
	v_mov_b32_e32 v40, v30
	v_sub_f32_e32 v31, v22, v31
	v_sub_f32_e32 v6, v4, v6
	v_add_f32_e32 v22, v35, v22
	v_add_f32_e32 v4, v36, v4
	v_mul_f32_e32 v11, 0x3f4a47b2, v11
	v_mul_f32_e32 v14, 0x3f4a47b2, v14
	;; [unrolled: 1-line block ×8, first 2 shown]
	v_fmac_f32_e32 v40, 0xbf955555, v7
	v_mov_b32_e32 v7, v32
	v_fmac_f32_e32 v7, 0xbf955555, v8
	v_fma_f32 v8, v33, s1, -v16
	v_fma_f32 v16, v34, s1, -v35
	;; [unrolled: 1-line block ×3, first 2 shown]
	v_fmac_f32_e32 v11, 0x3d64c772, v9
	v_fma_f32 v9, v34, s2, -v14
	v_fmac_f32_e32 v14, 0x3d64c772, v24
	v_fma_f32 v24, v29, s0, -v36
	v_fma_f32 v5, v5, s0, -v37
	v_fmac_f32_e32 v37, 0xbeae86e6, v6
	v_fma_f32 v29, v31, s3, -v38
	v_fma_f32 v6, v6, s3, -v39
	v_fmac_f32_e32 v36, 0xbeae86e6, v31
	v_add_f32_e32 v11, v11, v40
	v_add_f32_e32 v14, v14, v7
	v_add_f32_e32 v8, v8, v40
	v_add_f32_e32 v16, v16, v7
	v_add_f32_e32 v31, v33, v40
	v_add_f32_e32 v7, v9, v7
	v_fmac_f32_e32 v37, 0xbee1c552, v4
	v_fmac_f32_e32 v5, 0xbee1c552, v4
	;; [unrolled: 1-line block ×6, first 2 shown]
	v_add_f32_e32 v4, v37, v11
	v_add_f32_e32 v9, v6, v31
	v_sub_f32_e32 v33, v7, v29
	v_sub_f32_e32 v34, v8, v5
	v_add_f32_e32 v5, v5, v8
	v_sub_f32_e32 v6, v31, v6
	v_add_f32_e32 v29, v29, v7
	v_sub_f32_e32 v7, v11, v37
	v_sub_f32_e32 v22, v14, v36
	v_add_f32_e32 v35, v24, v16
	v_sub_f32_e32 v24, v16, v24
	v_add_f32_e32 v31, v36, v14
	ds_write2_b32 v50, v23, v12 offset1:17
	ds_write2_b32 v50, v13, v27 offset0:34 offset1:51
	ds_write2_b32 v50, v17, v15 offset0:68 offset1:85
	;; [unrolled: 1-line block ×6, first 2 shown]
	s_waitcnt lgkmcnt(0)
	; wave barrier
	s_waitcnt lgkmcnt(0)
	ds_read2_b32 v[10:11], v50 offset0:119 offset1:136
	ds_read2_b32 v[4:5], v50 offset0:17 offset1:34
	ds_read2_b32 v[12:13], v50 offset0:153 offset1:170
	ds_read2_b32 v[6:7], v50 offset0:51 offset1:68
	ds_read2_b32 v[14:15], v50 offset0:187 offset1:204
	ds_read2_b32 v[8:9], v50 offset0:85 offset1:102
	ds_read_b32 v16, v26
	ds_read_b32 v17, v50 offset:884
	s_waitcnt lgkmcnt(0)
	; wave barrier
	s_waitcnt lgkmcnt(0)
	ds_write2_b32 v50, v1, v19 offset1:17
	ds_write2_b32 v50, v25, v28 offset0:34 offset1:51
	ds_write2_b32 v50, v20, v18 offset0:68 offset1:85
	;; [unrolled: 1-line block ×6, first 2 shown]
	s_waitcnt lgkmcnt(0)
	; wave barrier
	s_waitcnt lgkmcnt(0)
	s_and_saveexec_b64 s[0:1], vcc
	s_cbranch_execz .LBB0_16
; %bb.15:
	v_mov_b32_e32 v1, 0
	v_lshlrev_b64 v[18:19], 3, v[0:1]
	v_mov_b32_e32 v21, s9
	v_add_co_u32_e32 v20, vcc, s8, v18
	v_addc_co_u32_e32 v21, vcc, v21, v19, vcc
	global_load_dwordx2 v[22:23], v[20:21], off offset:1632
	global_load_dwordx2 v[24:25], v[20:21], off offset:1496
	global_load_dwordx2 v[27:28], v[20:21], off offset:1360
	global_load_dwordx2 v[29:30], v[20:21], off offset:1224
	global_load_dwordx2 v[31:32], v[20:21], off offset:1088
	global_load_dwordx2 v[33:34], v[20:21], off offset:952
	global_load_dwordx2 v[35:36], v[20:21], off offset:816
	ds_read2_b32 v[20:21], v50 offset0:85 offset1:102
	ds_read2_b32 v[37:38], v50 offset0:187 offset1:204
	;; [unrolled: 1-line block ×6, first 2 shown]
	ds_read_b32 v47, v50 offset:884
	ds_read_b32 v48, v26
	v_mov_b32_e32 v26, s13
	v_add_u32_e32 v49, 34, v0
	s_mov_b32 s0, 0x44d72045
	v_add_co_u32_e32 v50, vcc, s12, v2
	v_addc_co_u32_e32 v51, vcc, v26, v3, vcc
	v_mul_hi_u32 v49, v49, s0
	v_add_co_u32_e32 v18, vcc, v50, v18
	v_addc_co_u32_e32 v19, vcc, v51, v19, vcc
	s_movk_i32 s1, 0x77
	s_waitcnt vmcnt(6)
	v_mul_f32_e32 v2, v17, v23
	s_waitcnt vmcnt(5)
	v_mul_f32_e32 v3, v15, v25
	s_waitcnt lgkmcnt(6)
	v_mul_f32_e32 v25, v38, v25
	s_waitcnt vmcnt(4)
	v_mul_f32_e32 v26, v14, v28
	s_waitcnt lgkmcnt(1)
	v_mul_f32_e32 v23, v47, v23
	v_mul_f32_e32 v28, v37, v28
	s_waitcnt vmcnt(0)
	v_mul_f32_e32 v55, v10, v36
	v_mul_f32_e32 v36, v45, v36
	v_fmac_f32_e32 v25, v15, v24
	v_fma_f32 v15, v37, v27, -v26
	v_fma_f32 v26, v45, v35, -v55
	v_fmac_f32_e32 v36, v10, v35
	v_mul_f32_e32 v54, v11, v34
	v_mul_f32_e32 v34, v46, v34
	v_fmac_f32_e32 v23, v17, v22
	v_fma_f32 v17, v38, v24, -v3
	v_fmac_f32_e32 v28, v14, v27
	s_waitcnt lgkmcnt(0)
	v_sub_f32_e32 v27, v48, v26
	v_sub_f32_e32 v26, v16, v36
	v_fmac_f32_e32 v34, v11, v33
	v_sub_f32_e32 v11, v20, v17
	v_fma_f32 v17, v48, 2.0, -v27
	v_fma_f32 v16, v16, 2.0, -v26
	global_store_dwordx2 v[18:19], v[16:17], off
	global_store_dwordx2 v[18:19], v[26:27], off offset:952
	v_lshrrev_b32_e32 v16, 5, v49
	v_mul_f32_e32 v53, v12, v32
	v_mul_f32_e32 v32, v41, v32
	v_mul_lo_u32 v16, v16, s1
	v_mul_f32_e32 v52, v13, v30
	v_mul_f32_e32 v30, v42, v30
	v_fma_f32 v2, v47, v22, -v2
	v_fma_f32 v22, v41, v31, -v53
	v_fmac_f32_e32 v32, v12, v31
	v_fma_f32 v24, v46, v33, -v54
	v_fma_f32 v14, v42, v29, -v52
	v_fmac_f32_e32 v30, v13, v29
	v_sub_f32_e32 v3, v21, v2
	v_sub_f32_e32 v2, v9, v23
	;; [unrolled: 1-line block ×10, first 2 shown]
	v_fma_f32 v30, v5, 2.0, -v22
	v_fma_f32 v5, v43, 2.0, -v25
	;; [unrolled: 1-line block ×3, first 2 shown]
	v_mov_b32_e32 v17, v1
	global_store_dwordx2 v[18:19], v[4:5], off offset:136
	global_store_dwordx2 v[18:19], v[24:25], off offset:1088
	v_lshlrev_b64 v[4:5], 3, v[16:17]
	v_add_u32_e32 v16, 51, v0
	v_mul_hi_u32 v16, v16, s0
	v_add_co_u32_e32 v4, vcc, v18, v4
	v_fma_f32 v31, v44, 2.0, -v23
	v_lshrrev_b32_e32 v16, 5, v16
	v_mul_lo_u32 v16, v16, s1
	v_addc_co_u32_e32 v5, vcc, v19, v5, vcc
	global_store_dwordx2 v[4:5], v[30:31], off offset:272
	global_store_dwordx2 v[4:5], v[22:23], off offset:1224
	v_lshlrev_b64 v[4:5], 3, v[16:17]
	v_add_u32_e32 v16, 0x44, v0
	v_mul_hi_u32 v16, v16, s0
	v_sub_f32_e32 v12, v7, v28
	v_add_co_u32_e32 v4, vcc, v18, v4
	v_fma_f32 v28, v9, 2.0, -v2
	v_fma_f32 v9, v20, 2.0, -v11
	;; [unrolled: 1-line block ×5, first 2 shown]
	v_addc_co_u32_e32 v5, vcc, v19, v5, vcc
	global_store_dwordx2 v[4:5], v[6:7], off offset:408
	global_store_dwordx2 v[4:5], v[14:15], off offset:1360
	v_add_u32_e32 v6, 0x55, v0
	v_lshrrev_b32_e32 v16, 5, v16
	v_mul_hi_u32 v6, v6, s0
	v_mul_lo_u32 v16, v16, s1
	v_add_u32_e32 v0, 0x66, v0
	v_mul_hi_u32 v0, v0, s0
	v_lshrrev_b32_e32 v6, 5, v6
	v_lshlrev_b64 v[4:5], 3, v[16:17]
	v_mul_lo_u32 v6, v6, s1
	v_lshrrev_b32_e32 v0, 5, v0
	v_add_co_u32_e32 v4, vcc, v18, v4
	v_mul_lo_u32 v0, v0, s1
	v_fma_f32 v29, v21, 2.0, -v3
	v_fma_f32 v21, v40, 2.0, -v13
	v_addc_co_u32_e32 v5, vcc, v19, v5, vcc
	v_mov_b32_e32 v7, v1
	global_store_dwordx2 v[4:5], v[20:21], off offset:544
	global_store_dwordx2 v[4:5], v[12:13], off offset:1496
	v_lshlrev_b64 v[4:5], 3, v[6:7]
	v_lshlrev_b64 v[0:1], 3, v[0:1]
	v_add_co_u32_e32 v4, vcc, v18, v4
	v_addc_co_u32_e32 v5, vcc, v19, v5, vcc
	v_add_co_u32_e32 v0, vcc, v18, v0
	v_fma_f32 v8, v8, 2.0, -v10
	v_addc_co_u32_e32 v1, vcc, v19, v1, vcc
	global_store_dwordx2 v[4:5], v[8:9], off offset:680
	global_store_dwordx2 v[4:5], v[10:11], off offset:1632
	;; [unrolled: 1-line block ×4, first 2 shown]
.LBB0_16:
	s_endpgm
	.section	.rodata,"a",@progbits
	.p2align	6, 0x0
	.amdhsa_kernel fft_rtc_back_len238_factors_17_7_2_wgs_51_tpt_17_halfLds_sp_ip_CI_unitstride_sbrr_dirReg
		.amdhsa_group_segment_fixed_size 0
		.amdhsa_private_segment_fixed_size 0
		.amdhsa_kernarg_size 88
		.amdhsa_user_sgpr_count 6
		.amdhsa_user_sgpr_private_segment_buffer 1
		.amdhsa_user_sgpr_dispatch_ptr 0
		.amdhsa_user_sgpr_queue_ptr 0
		.amdhsa_user_sgpr_kernarg_segment_ptr 1
		.amdhsa_user_sgpr_dispatch_id 0
		.amdhsa_user_sgpr_flat_scratch_init 0
		.amdhsa_user_sgpr_private_segment_size 0
		.amdhsa_uses_dynamic_stack 0
		.amdhsa_system_sgpr_private_segment_wavefront_offset 0
		.amdhsa_system_sgpr_workgroup_id_x 1
		.amdhsa_system_sgpr_workgroup_id_y 0
		.amdhsa_system_sgpr_workgroup_id_z 0
		.amdhsa_system_sgpr_workgroup_info 0
		.amdhsa_system_vgpr_workitem_id 0
		.amdhsa_next_free_vgpr 83
		.amdhsa_next_free_sgpr 22
		.amdhsa_reserve_vcc 1
		.amdhsa_reserve_flat_scratch 0
		.amdhsa_float_round_mode_32 0
		.amdhsa_float_round_mode_16_64 0
		.amdhsa_float_denorm_mode_32 3
		.amdhsa_float_denorm_mode_16_64 3
		.amdhsa_dx10_clamp 1
		.amdhsa_ieee_mode 1
		.amdhsa_fp16_overflow 0
		.amdhsa_exception_fp_ieee_invalid_op 0
		.amdhsa_exception_fp_denorm_src 0
		.amdhsa_exception_fp_ieee_div_zero 0
		.amdhsa_exception_fp_ieee_overflow 0
		.amdhsa_exception_fp_ieee_underflow 0
		.amdhsa_exception_fp_ieee_inexact 0
		.amdhsa_exception_int_div_zero 0
	.end_amdhsa_kernel
	.text
.Lfunc_end0:
	.size	fft_rtc_back_len238_factors_17_7_2_wgs_51_tpt_17_halfLds_sp_ip_CI_unitstride_sbrr_dirReg, .Lfunc_end0-fft_rtc_back_len238_factors_17_7_2_wgs_51_tpt_17_halfLds_sp_ip_CI_unitstride_sbrr_dirReg
                                        ; -- End function
	.section	.AMDGPU.csdata,"",@progbits
; Kernel info:
; codeLenInByte = 8752
; NumSgprs: 26
; NumVgprs: 83
; ScratchSize: 0
; MemoryBound: 0
; FloatMode: 240
; IeeeMode: 1
; LDSByteSize: 0 bytes/workgroup (compile time only)
; SGPRBlocks: 3
; VGPRBlocks: 20
; NumSGPRsForWavesPerEU: 26
; NumVGPRsForWavesPerEU: 83
; Occupancy: 3
; WaveLimiterHint : 1
; COMPUTE_PGM_RSRC2:SCRATCH_EN: 0
; COMPUTE_PGM_RSRC2:USER_SGPR: 6
; COMPUTE_PGM_RSRC2:TRAP_HANDLER: 0
; COMPUTE_PGM_RSRC2:TGID_X_EN: 1
; COMPUTE_PGM_RSRC2:TGID_Y_EN: 0
; COMPUTE_PGM_RSRC2:TGID_Z_EN: 0
; COMPUTE_PGM_RSRC2:TIDIG_COMP_CNT: 0
	.type	__hip_cuid_aa497c916476c3be,@object ; @__hip_cuid_aa497c916476c3be
	.section	.bss,"aw",@nobits
	.globl	__hip_cuid_aa497c916476c3be
__hip_cuid_aa497c916476c3be:
	.byte	0                               ; 0x0
	.size	__hip_cuid_aa497c916476c3be, 1

	.ident	"AMD clang version 19.0.0git (https://github.com/RadeonOpenCompute/llvm-project roc-6.4.0 25133 c7fe45cf4b819c5991fe208aaa96edf142730f1d)"
	.section	".note.GNU-stack","",@progbits
	.addrsig
	.addrsig_sym __hip_cuid_aa497c916476c3be
	.amdgpu_metadata
---
amdhsa.kernels:
  - .args:
      - .actual_access:  read_only
        .address_space:  global
        .offset:         0
        .size:           8
        .value_kind:     global_buffer
      - .offset:         8
        .size:           8
        .value_kind:     by_value
      - .actual_access:  read_only
        .address_space:  global
        .offset:         16
        .size:           8
        .value_kind:     global_buffer
      - .actual_access:  read_only
        .address_space:  global
        .offset:         24
        .size:           8
        .value_kind:     global_buffer
      - .offset:         32
        .size:           8
        .value_kind:     by_value
      - .actual_access:  read_only
        .address_space:  global
        .offset:         40
        .size:           8
        .value_kind:     global_buffer
      - .actual_access:  read_only
        .address_space:  global
        .offset:         48
        .size:           8
        .value_kind:     global_buffer
      - .offset:         56
        .size:           4
        .value_kind:     by_value
      - .actual_access:  read_only
        .address_space:  global
        .offset:         64
        .size:           8
        .value_kind:     global_buffer
      - .actual_access:  read_only
        .address_space:  global
        .offset:         72
        .size:           8
        .value_kind:     global_buffer
      - .address_space:  global
        .offset:         80
        .size:           8
        .value_kind:     global_buffer
    .group_segment_fixed_size: 0
    .kernarg_segment_align: 8
    .kernarg_segment_size: 88
    .language:       OpenCL C
    .language_version:
      - 2
      - 0
    .max_flat_workgroup_size: 51
    .name:           fft_rtc_back_len238_factors_17_7_2_wgs_51_tpt_17_halfLds_sp_ip_CI_unitstride_sbrr_dirReg
    .private_segment_fixed_size: 0
    .sgpr_count:     26
    .sgpr_spill_count: 0
    .symbol:         fft_rtc_back_len238_factors_17_7_2_wgs_51_tpt_17_halfLds_sp_ip_CI_unitstride_sbrr_dirReg.kd
    .uniform_work_group_size: 1
    .uses_dynamic_stack: false
    .vgpr_count:     83
    .vgpr_spill_count: 0
    .wavefront_size: 64
amdhsa.target:   amdgcn-amd-amdhsa--gfx906
amdhsa.version:
  - 1
  - 2
...

	.end_amdgpu_metadata
